;; amdgpu-corpus repo=ROCm/rocFFT kind=compiled arch=gfx1030 opt=O3
	.text
	.amdgcn_target "amdgcn-amd-amdhsa--gfx1030"
	.amdhsa_code_object_version 6
	.protected	bluestein_single_back_len616_dim1_dp_op_CI_CI ; -- Begin function bluestein_single_back_len616_dim1_dp_op_CI_CI
	.globl	bluestein_single_back_len616_dim1_dp_op_CI_CI
	.p2align	8
	.type	bluestein_single_back_len616_dim1_dp_op_CI_CI,@function
bluestein_single_back_len616_dim1_dp_op_CI_CI: ; @bluestein_single_back_len616_dim1_dp_op_CI_CI
; %bb.0:
	s_load_dwordx4 s[0:3], s[4:5], 0x28
	v_mul_u32_u24_e32 v1, 0x2e9, v0
	v_mov_b32_e32 v101, 0
	v_lshrrev_b32_e32 v1, 16, v1
	v_add_nc_u32_e32 v100, s6, v1
	s_waitcnt lgkmcnt(0)
	v_cmp_gt_u64_e32 vcc_lo, s[0:1], v[100:101]
	s_and_saveexec_b32 s0, vcc_lo
	s_cbranch_execz .LBB0_23
; %bb.1:
	v_mul_lo_u16 v1, 0x58, v1
	s_clause 0x1
	s_load_dwordx2 s[14:15], s[4:5], 0x0
	s_load_dwordx2 s[12:13], s[4:5], 0x38
	v_sub_nc_u16 v0, v0, v1
	v_and_b32_e32 v183, 0xffff, v0
	v_cmp_gt_u16_e32 vcc_lo, 56, v0
	v_lshlrev_b32_e32 v181, 4, v183
	v_or_b32_e32 v182, 0x1c0, v183
	s_and_saveexec_b32 s1, vcc_lo
	s_cbranch_execz .LBB0_3
; %bb.2:
	s_load_dwordx2 s[6:7], s[4:5], 0x18
	s_waitcnt lgkmcnt(0)
	v_add_co_u32 v22, s0, s14, v181
	v_add_co_ci_u32_e64 v23, null, s15, 0, s0
	v_lshlrev_b32_e32 v20, 4, v182
	s_load_dwordx4 s[8:11], s[6:7], 0x0
	s_waitcnt lgkmcnt(0)
	v_mad_u64_u32 v[12:13], null, s10, v100, 0
	v_mad_u64_u32 v[16:17], null, s8, v183, 0
	s_mul_i32 s6, s9, 0x380
	s_mul_hi_u32 s7, s8, 0x380
	s_add_i32 s7, s7, s6
	v_mov_b32_e32 v0, v13
	v_mov_b32_e32 v1, v17
	v_mad_u64_u32 v[8:9], null, s11, v100, v[0:1]
	v_mad_u64_u32 v[14:15], null, s9, v183, v[1:2]
	s_clause 0x1
	global_load_dwordx4 v[0:3], v181, s[14:15]
	global_load_dwordx4 v[4:7], v181, s[14:15] offset:896
	v_mov_b32_e32 v13, v8
	global_load_dwordx4 v[8:11], v181, s[14:15] offset:1792
	v_mov_b32_e32 v17, v14
	v_lshlrev_b64 v[18:19], 4, v[12:13]
	global_load_dwordx4 v[12:15], v20, s[14:15]
	v_lshlrev_b64 v[16:17], 4, v[16:17]
	v_add_co_u32 v26, s0, s2, v18
	v_add_co_ci_u32_e64 v19, s0, s3, v19, s0
	s_mul_i32 s2, s8, 0x380
	v_add_co_u32 v24, s0, v26, v16
	v_add_co_ci_u32_e64 v25, s0, v19, v17, s0
	v_mad_u64_u32 v[16:17], null, s8, v182, 0
	v_add_co_u32 v40, s0, v24, s2
	v_add_co_ci_u32_e64 v41, s0, s7, v25, s0
	v_add_co_u32 v44, s0, v40, s2
	v_add_co_ci_u32_e64 v45, s0, s7, v41, s0
	;; [unrolled: 2-line block ×4, first 2 shown]
	v_mad_u64_u32 v[17:18], null, s9, v182, v[17:18]
	v_add_co_u32 v52, s0, v48, s2
	v_add_co_ci_u32_e64 v53, s0, s7, v49, s0
	v_add_co_u32 v56, s0, v52, s2
	v_add_co_ci_u32_e64 v57, s0, s7, v53, s0
	;; [unrolled: 2-line block ×4, first 2 shown]
	v_lshlrev_b64 v[16:17], 4, v[16:17]
	v_add_co_u32 v64, s0, v60, s2
	v_add_co_ci_u32_e64 v65, s0, s7, v61, s0
	v_add_co_u32 v72, s0, 0x1800, v22
	v_add_co_ci_u32_e64 v73, s0, 0, v23, s0
	v_mad_u64_u32 v[76:77], null, 0x700, s8, v[64:65]
	v_add_co_u32 v80, s0, 0x2000, v22
	v_add_co_ci_u32_e64 v81, s0, 0, v23, s0
	v_add_co_u32 v28, s0, v26, v16
	v_mov_b32_e32 v32, v77
	v_add_co_ci_u32_e64 v29, s0, v19, v17, s0
	s_clause 0x1
	global_load_dwordx4 v[16:19], v[20:21], off offset:640
	global_load_dwordx4 v[20:23], v[20:21], off offset:1536
	s_clause 0x1
	global_load_dwordx4 v[24:27], v[24:25], off
	global_load_dwordx4 v[28:31], v[28:29], off
	v_add_co_u32 v84, s0, v76, s2
	v_mad_u64_u32 v[66:67], null, 0x700, s9, v[32:33]
	s_clause 0x1
	global_load_dwordx4 v[32:35], v[36:37], off offset:384
	global_load_dwordx4 v[36:39], v[36:37], off offset:1280
	s_clause 0x3
	global_load_dwordx4 v[40:43], v[40:41], off
	global_load_dwordx4 v[44:47], v[44:45], off
	;; [unrolled: 1-line block ×6, first 2 shown]
	v_mov_b32_e32 v77, v66
	global_load_dwordx4 v[64:67], v[64:65], off
	v_add_co_ci_u32_e64 v85, s0, s7, v77, s0
	s_clause 0x1
	global_load_dwordx4 v[68:71], v[72:73], off offset:128
	global_load_dwordx4 v[72:75], v[72:73], off offset:1920
	global_load_dwordx4 v[76:79], v[76:77], off
	global_load_dwordx4 v[80:83], v[80:81], off offset:768
	global_load_dwordx4 v[84:87], v[84:85], off
	s_waitcnt vmcnt(15)
	v_mul_f64 v[88:89], v[26:27], v[2:3]
	v_mul_f64 v[2:3], v[24:25], v[2:3]
	s_waitcnt vmcnt(14)
	v_mul_f64 v[90:91], v[30:31], v[14:15]
	v_mul_f64 v[14:15], v[28:29], v[14:15]
	s_waitcnt vmcnt(11)
	v_mul_f64 v[92:93], v[42:43], v[6:7]
	v_mul_f64 v[6:7], v[40:41], v[6:7]
	s_waitcnt vmcnt(10)
	v_mul_f64 v[94:95], v[46:47], v[10:11]
	v_mul_f64 v[96:97], v[44:45], v[10:11]
	s_waitcnt vmcnt(9)
	v_mul_f64 v[98:99], v[50:51], v[18:19]
	v_mul_f64 v[18:19], v[48:49], v[18:19]
	s_waitcnt vmcnt(8)
	v_mul_f64 v[101:102], v[54:55], v[22:23]
	v_mul_f64 v[103:104], v[52:53], v[22:23]
	s_waitcnt vmcnt(7)
	v_mul_f64 v[105:106], v[58:59], v[34:35]
	v_mul_f64 v[34:35], v[56:57], v[34:35]
	s_waitcnt vmcnt(6)
	v_mul_f64 v[107:108], v[62:63], v[38:39]
	v_mul_f64 v[38:39], v[60:61], v[38:39]
	s_waitcnt vmcnt(4)
	v_mul_f64 v[109:110], v[66:67], v[70:71]
	v_mul_f64 v[70:71], v[64:65], v[70:71]
	s_waitcnt vmcnt(2)
	v_mul_f64 v[111:112], v[78:79], v[74:75]
	v_mul_f64 v[74:75], v[76:77], v[74:75]
	s_waitcnt vmcnt(0)
	v_mul_f64 v[113:114], v[86:87], v[82:83]
	v_mul_f64 v[82:83], v[84:85], v[82:83]
	v_fma_f64 v[22:23], v[24:25], v[0:1], v[88:89]
	v_fma_f64 v[24:25], v[26:27], v[0:1], -v[2:3]
	v_fma_f64 v[0:1], v[28:29], v[12:13], v[90:91]
	v_fma_f64 v[2:3], v[30:31], v[12:13], -v[14:15]
	;; [unrolled: 2-line block ×11, first 2 shown]
	ds_write_b128 v181, v[22:25]
	ds_write_b128 v181, v[10:13] offset:896
	ds_write_b128 v181, v[4:7] offset:1792
	;; [unrolled: 1-line block ×10, first 2 shown]
.LBB0_3:
	s_or_b32 exec_lo, exec_lo, s1
	s_clause 0x1
	s_load_dwordx2 s[0:1], s[4:5], 0x20
	s_load_dwordx2 s[2:3], s[4:5], 0x8
	s_waitcnt lgkmcnt(0)
	s_barrier
	buffer_gl0_inv
                                        ; implicit-def: $vgpr28_vgpr29
                                        ; implicit-def: $vgpr40_vgpr41
                                        ; implicit-def: $vgpr36_vgpr37
                                        ; implicit-def: $vgpr24_vgpr25
                                        ; implicit-def: $vgpr20_vgpr21
                                        ; implicit-def: $vgpr16_vgpr17
                                        ; implicit-def: $vgpr12_vgpr13
                                        ; implicit-def: $vgpr32_vgpr33
                                        ; implicit-def: $vgpr48_vgpr49
                                        ; implicit-def: $vgpr52_vgpr53
                                        ; implicit-def: $vgpr44_vgpr45
	s_and_saveexec_b32 s4, vcc_lo
	s_cbranch_execz .LBB0_5
; %bb.4:
	ds_read_b128 v[28:31], v181
	ds_read_b128 v[44:47], v181 offset:896
	ds_read_b128 v[40:43], v181 offset:1792
	;; [unrolled: 1-line block ×10, first 2 shown]
.LBB0_5:
	s_or_b32 exec_lo, exec_lo, s4
	s_waitcnt lgkmcnt(0)
	v_add_f64 v[80:81], v[46:47], -v[14:15]
	v_add_f64 v[76:77], v[44:45], -v[12:13]
	s_mov_b32 s8, 0xf8bb580b
	s_mov_b32 s9, 0xbfe14ced
	v_add_f64 v[60:61], v[12:13], v[44:45]
	v_add_f64 v[72:73], v[14:15], v[46:47]
	v_add_f64 v[82:83], v[42:43], -v[18:19]
	v_add_f64 v[62:63], v[40:41], -v[16:17]
	s_mov_b32 s4, 0x8764f0ba
	s_mov_b32 s20, 0x8eee2c13
	;; [unrolled: 1-line block ×8, first 2 shown]
	v_add_f64 v[56:57], v[40:41], v[16:17]
	v_add_f64 v[58:59], v[42:43], v[18:19]
	s_mov_b32 s6, 0xd9c712b6
	s_mov_b32 s10, 0x640f44db
	;; [unrolled: 1-line block ×4, first 2 shown]
	v_mul_f64 v[129:130], v[80:81], s[8:9]
	v_mul_f64 v[131:132], v[76:77], s[8:9]
	;; [unrolled: 1-line block ×10, first 2 shown]
	s_mov_b32 s7, 0x3fda9628
	s_mov_b32 s11, 0xbfc2375f
	;; [unrolled: 1-line block ×6, first 2 shown]
	v_add_f64 v[92:93], v[54:55], -v[22:23]
	v_add_f64 v[88:89], v[52:53], -v[20:21]
	v_mul_f64 v[139:140], v[82:83], s[24:25]
	v_mul_f64 v[145:146], v[62:63], s[24:25]
	;; [unrolled: 1-line block ×4, first 2 shown]
	v_fma_f64 v[0:1], v[60:61], s[4:5], v[129:130]
	v_fma_f64 v[2:3], v[72:73], s[4:5], -v[131:132]
	v_fma_f64 v[4:5], v[60:61], s[6:7], v[157:158]
	v_fma_f64 v[6:7], v[72:73], s[6:7], -v[161:162]
	;; [unrolled: 2-line block ×4, first 2 shown]
	v_mul_f64 v[159:160], v[82:83], s[28:29]
	v_mul_f64 v[165:166], v[62:63], s[28:29]
	v_fma_f64 v[94:95], v[60:61], s[16:17], v[177:178]
	v_fma_f64 v[96:97], v[72:73], s[16:17], -v[179:180]
	s_mov_b32 s22, 0x9bcd5057
	s_mov_b32 s23, 0xbfeeb42a
	;; [unrolled: 1-line block ×4, first 2 shown]
	v_add_f64 v[68:69], v[20:21], v[52:53]
	v_add_f64 v[78:79], v[22:23], v[54:55]
	v_add_f64 v[90:91], v[50:51], -v[26:27]
	v_add_f64 v[125:126], v[48:49], -v[24:25]
	v_mul_f64 v[135:136], v[92:93], s[18:19]
	v_mul_f64 v[137:138], v[88:89], s[18:19]
	v_add_f64 v[0:1], v[28:29], v[0:1]
	v_add_f64 v[2:3], v[30:31], v[2:3]
	v_mul_f64 v[141:142], v[92:93], s[30:31]
	v_mul_f64 v[143:144], v[88:89], s[30:31]
	v_mul_f64 v[155:156], v[92:93], s[26:27]
	v_fma_f64 v[101:102], v[56:57], s[16:17], v[139:140]
	v_fma_f64 v[105:106], v[58:59], s[16:17], -v[145:146]
	v_add_f64 v[4:5], v[28:29], v[4:5]
	v_add_f64 v[6:7], v[30:31], v[6:7]
	v_fma_f64 v[111:112], v[56:57], s[22:23], v[147:148]
	v_fma_f64 v[113:114], v[58:59], s[22:23], -v[153:154]
	v_add_f64 v[64:65], v[28:29], v[64:65]
	v_add_f64 v[66:67], v[30:31], v[66:67]
	v_mul_f64 v[163:164], v[88:89], s[26:27]
	v_add_f64 v[115:116], v[28:29], v[94:95]
	v_add_f64 v[117:118], v[30:31], v[96:97]
	v_mul_f64 v[169:170], v[92:93], s[8:9]
	v_mul_f64 v[173:174], v[88:89], s[8:9]
	s_mov_b32 s35, 0xbfd207e7
	s_mov_b32 s34, s30
	v_add_f64 v[70:71], v[24:25], v[48:49]
	v_add_f64 v[74:75], v[26:27], v[50:51]
	;; [unrolled: 1-line block ×4, first 2 shown]
	v_fma_f64 v[8:9], v[56:57], s[10:11], v[159:160]
	v_fma_f64 v[10:11], v[58:59], s[10:11], -v[165:166]
	v_add_f64 v[133:134], v[38:39], -v[34:35]
	v_mul_f64 v[84:85], v[90:91], s[24:25]
	v_mul_f64 v[86:87], v[125:126], s[24:25]
	v_fma_f64 v[98:99], v[68:69], s[10:11], v[135:136]
	v_fma_f64 v[109:110], v[78:79], s[10:11], -v[137:138]
	v_add_f64 v[175:176], v[36:37], -v[32:33]
	v_mul_f64 v[94:95], v[90:91], s[28:29]
	v_mul_f64 v[96:97], v[125:126], s[28:29]
	v_fma_f64 v[123:124], v[68:69], s[22:23], v[141:142]
	v_fma_f64 v[127:128], v[78:79], s[22:23], -v[143:144]
	v_add_f64 v[4:5], v[101:102], v[4:5]
	v_add_f64 v[6:7], v[105:106], v[6:7]
	v_fma_f64 v[188:189], v[68:69], s[6:7], v[155:156]
	v_add_f64 v[64:65], v[111:112], v[64:65]
	v_add_f64 v[66:67], v[113:114], v[66:67]
	v_fma_f64 v[190:191], v[78:79], s[6:7], -v[163:164]
	v_mul_f64 v[111:112], v[90:91], s[8:9]
	v_mul_f64 v[113:114], v[125:126], s[8:9]
	v_fma_f64 v[192:193], v[68:69], s[4:5], v[169:170]
	v_fma_f64 v[194:195], v[78:79], s[4:5], -v[173:174]
	v_add_f64 v[8:9], v[8:9], v[115:116]
	v_add_f64 v[10:11], v[10:11], v[117:118]
	v_mul_f64 v[119:120], v[90:91], s[34:35]
	v_mul_f64 v[121:122], v[125:126], s[34:35]
	s_mov_b32 s37, 0x3fe14ced
	s_mov_b32 s36, s8
	v_fma_f64 v[184:185], v[70:71], s[16:17], v[84:85]
	v_fma_f64 v[186:187], v[74:75], s[16:17], -v[86:87]
	v_add_f64 v[0:1], v[98:99], v[0:1]
	v_add_f64 v[2:3], v[109:110], v[2:3]
	;; [unrolled: 1-line block ×3, first 2 shown]
	v_mul_f64 v[98:99], v[133:134], s[34:35]
	v_add_f64 v[151:152], v[38:39], v[34:35]
	v_mul_f64 v[101:102], v[175:176], s[34:35]
	v_add_f64 v[4:5], v[123:124], v[4:5]
	v_add_f64 v[6:7], v[127:128], v[6:7]
	v_fma_f64 v[196:197], v[70:71], s[10:11], v[94:95]
	v_fma_f64 v[198:199], v[74:75], s[10:11], -v[96:97]
	v_mul_f64 v[105:106], v[133:134], s[36:37]
	v_mul_f64 v[109:110], v[175:176], s[36:37]
	v_add_f64 v[64:65], v[188:189], v[64:65]
	v_add_f64 v[66:67], v[190:191], v[66:67]
	v_fma_f64 v[188:189], v[70:71], s[4:5], v[111:112]
	v_fma_f64 v[190:191], v[74:75], s[4:5], -v[113:114]
	v_mul_f64 v[115:116], v[133:134], s[24:25]
	;; [unrolled: 6-line block ×3, first 2 shown]
	v_mul_f64 v[127:128], v[175:176], s[26:27]
	v_add_f64 v[0:1], v[184:185], v[0:1]
	v_add_f64 v[2:3], v[186:187], v[2:3]
	v_fma_f64 v[184:185], v[149:150], s[22:23], v[98:99]
	v_fma_f64 v[186:187], v[151:152], s[22:23], -v[101:102]
	s_barrier
	v_add_f64 v[4:5], v[196:197], v[4:5]
	v_add_f64 v[6:7], v[198:199], v[6:7]
	v_fma_f64 v[196:197], v[149:150], s[4:5], v[105:106]
	v_fma_f64 v[198:199], v[151:152], s[4:5], -v[109:110]
	buffer_gl0_inv
	v_add_f64 v[64:65], v[188:189], v[64:65]
	v_add_f64 v[66:67], v[190:191], v[66:67]
	v_fma_f64 v[188:189], v[149:150], s[16:17], v[115:116]
	v_fma_f64 v[190:191], v[151:152], s[16:17], -v[117:118]
	v_add_f64 v[192:193], v[192:193], v[8:9]
	v_add_f64 v[194:195], v[194:195], v[10:11]
	v_fma_f64 v[200:201], v[149:150], s[6:7], v[123:124]
	v_fma_f64 v[202:203], v[151:152], s[6:7], -v[127:128]
	v_add_f64 v[0:1], v[184:185], v[0:1]
	v_add_f64 v[2:3], v[186:187], v[2:3]
	v_mul_lo_u16 v184, v183, 11
	v_add_f64 v[4:5], v[196:197], v[4:5]
	v_add_f64 v[6:7], v[198:199], v[6:7]
	;; [unrolled: 1-line block ×6, first 2 shown]
	s_and_saveexec_b32 s33, vcc_lo
	s_cbranch_execz .LBB0_7
; %bb.6:
	v_add_f64 v[46:47], v[30:31], v[46:47]
	v_add_f64 v[44:45], v[28:29], v[44:45]
	v_mul_f64 v[82:83], v[82:83], s[36:37]
	v_mul_f64 v[92:93], v[92:93], s[24:25]
	v_mul_f64 v[90:91], v[90:91], s[26:27]
	v_mul_f64 v[133:134], v[133:134], s[18:19]
	v_add_f64 v[42:43], v[42:43], v[46:47]
	v_add_f64 v[40:41], v[40:41], v[44:45]
	v_mul_f64 v[44:45], v[72:73], s[22:23]
	v_mul_f64 v[46:47], v[72:73], s[16:17]
	v_add_f64 v[42:43], v[54:55], v[42:43]
	v_add_f64 v[40:41], v[52:53], v[40:41]
	v_mul_f64 v[52:53], v[60:61], s[16:17]
	v_mul_f64 v[54:55], v[80:81], s[34:35]
	v_add_f64 v[46:47], v[179:180], v[46:47]
	v_mul_f64 v[179:180], v[60:61], s[10:11]
	v_mul_f64 v[80:81], v[72:73], s[4:5]
	v_add_f64 v[42:43], v[50:51], v[42:43]
	v_fma_f64 v[50:51], v[76:77], s[30:31], v[44:45]
	v_fma_f64 v[44:45], v[76:77], s[34:35], v[44:45]
	v_mul_f64 v[76:77], v[60:61], s[6:7]
	v_add_f64 v[52:53], v[52:53], -v[177:178]
	v_fma_f64 v[177:178], v[60:61], s[22:23], v[54:55]
	v_fma_f64 v[54:55], v[60:61], s[22:23], -v[54:55]
	v_mul_f64 v[60:61], v[60:61], s[4:5]
	v_add_f64 v[40:41], v[48:49], v[40:41]
	v_mul_f64 v[48:49], v[72:73], s[10:11]
	v_mul_f64 v[72:73], v[72:73], s[6:7]
	v_add_f64 v[167:168], v[179:180], -v[167:168]
	v_add_f64 v[80:81], v[131:132], v[80:81]
	v_mul_f64 v[131:132], v[58:59], s[10:11]
	v_mul_f64 v[179:180], v[58:59], s[4:5]
	s_mov_b32 s31, 0x3fe82f19
	s_mov_b32 s30, s24
	v_add_f64 v[46:47], v[30:31], v[46:47]
	v_add_f64 v[38:39], v[38:39], v[42:43]
	v_mul_f64 v[42:43], v[74:75], s[6:7]
	v_add_f64 v[50:51], v[30:31], v[50:51]
	v_add_f64 v[76:77], v[76:77], -v[157:158]
	v_mul_f64 v[157:158], v[78:79], s[4:5]
	v_add_f64 v[177:178], v[28:29], v[177:178]
	v_add_f64 v[54:55], v[28:29], v[54:55]
	v_add_f64 v[60:61], v[60:61], -v[129:130]
	v_add_f64 v[36:37], v[36:37], v[40:41]
	v_mul_f64 v[40:41], v[151:152], s[10:11]
	v_add_f64 v[72:73], v[161:162], v[72:73]
	v_mul_f64 v[161:162], v[78:79], s[16:17]
	v_add_f64 v[52:53], v[28:29], v[52:53]
	v_add_f64 v[167:168], v[28:29], v[167:168]
	;; [unrolled: 1-line block ×3, first 2 shown]
	v_mul_f64 v[171:172], v[58:59], s[22:23]
	v_mul_f64 v[129:130], v[56:57], s[10:11]
	v_add_f64 v[131:132], v[165:166], v[131:132]
	v_mul_f64 v[165:166], v[56:57], s[6:7]
	v_add_f64 v[44:45], v[30:31], v[44:45]
	v_add_f64 v[34:35], v[34:35], v[38:39]
	;; [unrolled: 1-line block ×4, first 2 shown]
	v_mul_f64 v[173:174], v[58:59], s[16:17]
	v_mul_f64 v[58:59], v[58:59], s[6:7]
	v_add_f64 v[28:29], v[28:29], v[60:61]
	v_mul_f64 v[60:61], v[68:69], s[4:5]
	v_add_f64 v[32:33], v[32:33], v[36:37]
	v_mul_f64 v[36:37], v[78:79], s[6:7]
	v_fma_f64 v[38:39], v[175:176], s[28:29], v[40:41]
	v_fma_f64 v[40:41], v[175:176], s[18:19], v[40:41]
	;; [unrolled: 1-line block ×8, first 2 shown]
	v_mul_f64 v[179:180], v[56:57], s[22:23]
	v_add_f64 v[48:49], v[30:31], v[48:49]
	v_add_f64 v[72:73], v[30:31], v[72:73]
	v_add_f64 v[30:31], v[30:31], v[80:81]
	v_mul_f64 v[80:81], v[68:69], s[6:7]
	v_add_f64 v[129:130], v[129:130], -v[159:160]
	v_mul_f64 v[159:160], v[78:79], s[22:23]
	v_mul_f64 v[78:79], v[78:79], s[10:11]
	v_add_f64 v[153:154], v[153:154], v[171:172]
	v_fma_f64 v[171:172], v[68:69], s[16:17], v[92:93]
	v_fma_f64 v[92:93], v[68:69], s[16:17], -v[92:93]
	v_add_f64 v[60:61], v[60:61], -v[169:170]
	v_fma_f64 v[169:170], v[56:57], s[4:5], v[82:83]
	v_fma_f64 v[82:83], v[56:57], s[4:5], -v[82:83]
	v_mul_f64 v[56:57], v[56:57], s[16:17]
	v_add_f64 v[36:37], v[163:164], v[36:37]
	v_mul_f64 v[163:164], v[68:69], s[22:23]
	v_mul_f64 v[68:69], v[68:69], s[10:11]
	v_add_f64 v[58:59], v[107:108], v[58:59]
	v_add_f64 v[103:104], v[165:166], -v[103:104]
	v_add_f64 v[145:146], v[145:146], v[173:174]
	v_mul_f64 v[173:174], v[70:71], s[10:11]
	v_add_f64 v[147:148], v[179:180], -v[147:148]
	v_mul_f64 v[179:180], v[74:75], s[16:17]
	v_mul_f64 v[107:108], v[74:75], s[10:11]
	;; [unrolled: 1-line block ×3, first 2 shown]
	v_add_f64 v[80:81], v[80:81], -v[155:156]
	v_mul_f64 v[155:156], v[70:71], s[16:17]
	v_add_f64 v[143:144], v[143:144], v[159:160]
	v_fma_f64 v[159:160], v[70:71], s[6:7], v[90:91]
	v_fma_f64 v[90:91], v[70:71], s[6:7], -v[90:91]
	v_mul_f64 v[70:71], v[70:71], s[22:23]
	v_add_f64 v[78:79], v[137:138], v[78:79]
	v_add_f64 v[50:51], v[161:162], v[50:51]
	v_add_f64 v[46:47], v[131:132], v[46:47]
	v_add_f64 v[48:49], v[153:154], v[48:49]
	v_add_f64 v[56:57], v[56:57], -v[139:140]
	v_mul_f64 v[139:140], v[74:75], s[4:5]
	v_mul_f64 v[74:75], v[74:75], s[22:23]
	v_add_f64 v[68:69], v[68:69], -v[135:136]
	v_add_f64 v[30:31], v[58:59], v[30:31]
	v_add_f64 v[28:29], v[103:104], v[28:29]
	v_add_f64 v[141:142], v[163:164], -v[141:142]
	v_add_f64 v[44:45], v[62:63], v[44:45]
	v_add_f64 v[72:73], v[145:146], v[72:73]
	;; [unrolled: 1-line block ×8, first 2 shown]
	v_mul_f64 v[163:164], v[149:150], s[22:23]
	v_mul_f64 v[137:138], v[151:152], s[22:23]
	;; [unrolled: 1-line block ×3, first 2 shown]
	v_add_f64 v[34:35], v[70:71], -v[119:120]
	v_add_f64 v[86:87], v[86:87], v[179:180]
	v_add_f64 v[84:85], v[155:156], -v[84:85]
	v_add_f64 v[50:51], v[125:126], v[50:51]
	v_add_f64 v[56:57], v[56:57], v[76:77]
	;; [unrolled: 1-line block ×8, first 2 shown]
	v_mul_f64 v[135:136], v[149:150], s[4:5]
	v_mul_f64 v[161:162], v[151:152], s[4:5]
	;; [unrolled: 1-line block ×3, first 2 shown]
	v_add_f64 v[76:77], v[96:97], v[107:108]
	v_add_f64 v[82:83], v[173:174], -v[94:95]
	v_add_f64 v[44:45], v[88:89], v[44:45]
	v_add_f64 v[48:49], v[143:144], v[72:73]
	v_mul_f64 v[177:178], v[149:150], s[16:17]
	v_add_f64 v[74:75], v[165:166], -v[111:112]
	v_add_f64 v[58:59], v[80:81], v[58:59]
	v_fma_f64 v[131:132], v[149:150], s[10:11], v[133:134]
	v_fma_f64 v[133:134], v[149:150], s[10:11], -v[133:134]
	v_mul_f64 v[149:150], v[149:150], s[6:7]
	v_add_f64 v[52:53], v[60:61], v[52:53]
	v_add_f64 v[54:55], v[92:93], v[54:55]
	v_add_f64 v[56:57], v[141:142], v[56:57]
	v_add_f64 v[94:95], v[171:172], v[169:170]
	v_add_f64 v[22:23], v[22:23], v[26:27]
	v_add_f64 v[20:21], v[20:21], v[24:25]
	v_add_f64 v[62:63], v[117:118], v[62:63]
	v_add_f64 v[80:81], v[101:102], v[137:138]
	v_add_f64 v[88:89], v[163:164], -v[98:99]
	v_add_f64 v[26:27], v[175:176], v[50:51]
	v_add_f64 v[32:33], v[32:33], v[46:47]
	;; [unrolled: 1-line block ×7, first 2 shown]
	v_add_f64 v[78:79], v[135:136], -v[105:106]
	v_add_f64 v[42:43], v[42:43], v[44:45]
	v_add_f64 v[44:45], v[76:77], v[48:49]
	v_add_f64 v[68:69], v[177:178], -v[115:116]
	v_add_f64 v[60:61], v[149:150], -v[123:124]
	v_add_f64 v[52:53], v[34:35], v[52:53]
	v_add_f64 v[54:55], v[90:91], v[54:55]
	;; [unrolled: 1-line block ×14, first 2 shown]
	v_mov_b32_e32 v40, 4
	v_add_f64 v[24:25], v[60:61], v[52:53]
	v_add_f64 v[20:21], v[133:134], v[54:55]
	;; [unrolled: 1-line block ×7, first 2 shown]
	v_lshlrev_b32_sdwa v40, v40, v184 dst_sel:DWORD dst_unused:UNUSED_PAD src0_sel:DWORD src1_sel:WORD_0
	ds_write_b128 v40, v[64:67] offset:112
	ds_write_b128 v40, v[8:11] offset:128
	;; [unrolled: 1-line block ×9, first 2 shown]
	ds_write_b128 v40, v[12:15]
	ds_write_b128 v40, v[0:3] offset:160
.LBB0_7:
	s_or_b32 exec_lo, exec_lo, s33
	v_and_b32_e32 v12, 0xff, v183
	s_load_dwordx4 s[4:7], s[0:1], 0x0
	s_waitcnt lgkmcnt(0)
	s_barrier
	buffer_gl0_inv
	v_mul_lo_u16 v12, 0x75, v12
	s_mov_b32 s0, 0x37e14327
	s_mov_b32 s1, 0x3fe948f6
	;; [unrolled: 1-line block ×4, first 2 shown]
	v_lshrrev_b16 v12, 8, v12
	s_mov_b32 s9, 0x3fac98ee
	s_mov_b32 s11, 0xbfe11646
	;; [unrolled: 1-line block ×4, first 2 shown]
	v_sub_nc_u16 v13, v183, v12
	s_mov_b32 s19, 0x3fd5d0dc
	s_mov_b32 s18, 0xb247c609
	v_lshrrev_b16 v13, 1, v13
	v_and_b32_e32 v13, 0x7f, v13
	v_add_nc_u16 v12, v13, v12
	v_lshrrev_b16 v96, 3, v12
	v_mul_lo_u16 v12, v96, 11
	v_sub_nc_u16 v12, v183, v12
	v_and_b32_e32 v97, 0xff, v12
	v_mul_u32_u24_e32 v12, 6, v97
	v_lshlrev_b32_e32 v24, 4, v12
	s_clause 0x5
	global_load_dwordx4 v[16:19], v24, s[2:3]
	global_load_dwordx4 v[12:15], v24, s[2:3] offset:16
	global_load_dwordx4 v[20:23], v24, s[2:3] offset:80
	;; [unrolled: 1-line block ×5, first 2 shown]
	ds_read_b128 v[36:39], v181 offset:1408
	ds_read_b128 v[40:43], v181 offset:2816
	;; [unrolled: 1-line block ×6, first 2 shown]
	s_waitcnt vmcnt(5) lgkmcnt(5)
	v_mul_f64 v[60:61], v[38:39], v[18:19]
	v_mul_f64 v[62:63], v[36:37], v[18:19]
	s_waitcnt vmcnt(4) lgkmcnt(4)
	v_mul_f64 v[68:69], v[42:43], v[14:15]
	v_mul_f64 v[70:71], v[40:41], v[14:15]
	;; [unrolled: 3-line block ×6, first 2 shown]
	v_fma_f64 v[36:37], v[36:37], v[16:17], -v[60:61]
	v_fma_f64 v[38:39], v[38:39], v[16:17], v[62:63]
	v_fma_f64 v[40:41], v[40:41], v[12:13], -v[68:69]
	v_fma_f64 v[42:43], v[42:43], v[12:13], v[70:71]
	;; [unrolled: 2-line block ×6, first 2 shown]
	v_add_f64 v[60:61], v[36:37], v[44:45]
	v_add_f64 v[62:63], v[38:39], v[46:47]
	;; [unrolled: 1-line block ×4, first 2 shown]
	v_add_f64 v[40:41], v[40:41], -v[48:49]
	v_add_f64 v[42:43], v[42:43], -v[50:51]
	v_add_f64 v[72:73], v[52:53], v[56:57]
	v_add_f64 v[74:75], v[54:55], v[58:59]
	v_add_f64 v[48:49], v[56:57], -v[52:53]
	v_add_f64 v[50:51], v[58:59], -v[54:55]
	;; [unrolled: 1-line block ×4, first 2 shown]
	ds_read_b128 v[36:39], v181
	s_waitcnt lgkmcnt(0)
	s_barrier
	buffer_gl0_inv
	v_add_f64 v[52:53], v[68:69], v[60:61]
	v_add_f64 v[54:55], v[70:71], v[62:63]
	v_add_f64 v[56:57], v[60:61], -v[72:73]
	v_add_f64 v[58:59], v[62:63], -v[74:75]
	;; [unrolled: 1-line block ×10, first 2 shown]
	v_add_f64 v[40:41], v[48:49], v[40:41]
	v_add_f64 v[42:43], v[50:51], v[42:43]
	v_add_f64 v[48:49], v[44:45], -v[48:49]
	v_add_f64 v[50:51], v[46:47], -v[50:51]
	v_add_f64 v[52:53], v[72:73], v[52:53]
	v_add_f64 v[54:55], v[74:75], v[54:55]
	v_mul_f64 v[56:57], v[56:57], s[0:1]
	v_mul_f64 v[58:59], v[58:59], s[0:1]
	s_mov_b32 s0, 0x429ad128
	v_mul_f64 v[72:73], v[76:77], s[8:9]
	v_mul_f64 v[74:75], v[78:79], s[8:9]
	;; [unrolled: 1-line block ×4, first 2 shown]
	s_mov_b32 s1, 0x3febfeb5
	s_mov_b32 s10, 0xaaaaaaaa
	v_mul_f64 v[88:89], v[84:85], s[0:1]
	v_mul_f64 v[90:91], v[86:87], s[0:1]
	s_mov_b32 s11, 0xbff2aaaa
	v_add_f64 v[68:69], v[36:37], v[52:53]
	v_add_f64 v[70:71], v[38:39], v[54:55]
	;; [unrolled: 1-line block ×4, first 2 shown]
	v_fma_f64 v[40:41], v[76:77], s[8:9], v[56:57]
	v_fma_f64 v[42:43], v[78:79], s[8:9], v[58:59]
	v_fma_f64 v[44:45], v[60:61], s[16:17], -v[72:73]
	v_fma_f64 v[46:47], v[62:63], s[16:17], -v[74:75]
	s_mov_b32 s17, 0xbfe77f67
	v_fma_f64 v[72:73], v[48:49], s[18:19], v[80:81]
	v_fma_f64 v[74:75], v[50:51], s[18:19], v[82:83]
	s_mov_b32 s19, 0xbfd5d0dc
	v_fma_f64 v[76:77], v[84:85], s[0:1], -v[80:81]
	v_fma_f64 v[78:79], v[86:87], s[0:1], -v[82:83]
	;; [unrolled: 1-line block ×6, first 2 shown]
	s_mov_b32 s0, 0x37c3f68c
	s_mov_b32 s1, 0x3fdc38aa
	v_fma_f64 v[52:53], v[52:53], s[10:11], v[68:69]
	v_fma_f64 v[54:55], v[54:55], s[10:11], v[70:71]
	;; [unrolled: 1-line block ×8, first 2 shown]
	v_cmp_gt_u16_e64 s0, 0x4d, v183
	v_add_f64 v[40:41], v[40:41], v[52:53]
	v_add_f64 v[42:43], v[42:43], v[54:55]
	;; [unrolled: 1-line block ×7, first 2 shown]
	v_add_f64 v[74:75], v[42:43], -v[60:61]
	v_add_f64 v[76:77], v[38:39], v[48:49]
	v_add_f64 v[78:79], v[50:51], -v[36:37]
	v_add_f64 v[80:81], v[44:45], -v[84:85]
	v_add_f64 v[82:83], v[86:87], v[46:47]
	v_add_f64 v[84:85], v[84:85], v[44:45]
	v_add_f64 v[86:87], v[46:47], -v[86:87]
	v_add_f64 v[88:89], v[48:49], -v[38:39]
	v_add_f64 v[90:91], v[36:37], v[50:51]
	v_add_f64 v[92:93], v[40:41], -v[62:63]
	v_add_f64 v[94:95], v[60:61], v[42:43]
	v_mov_b32_e32 v36, 0x4d
	v_mul_u32_u24_sdwa v36, v96, v36 dst_sel:DWORD dst_unused:UNUSED_PAD src0_sel:WORD_0 src1_sel:DWORD
	v_add_lshl_u32 v161, v36, v97, 4
	ds_write_b128 v161, v[68:71]
	ds_write_b128 v161, v[72:75] offset:176
	ds_write_b128 v161, v[76:79] offset:352
	ds_write_b128 v161, v[80:83] offset:528
	ds_write_b128 v161, v[84:87] offset:704
	ds_write_b128 v161, v[88:91] offset:880
	ds_write_b128 v161, v[92:95] offset:1056
	s_waitcnt lgkmcnt(0)
	s_barrier
	buffer_gl0_inv
	s_and_saveexec_b32 s1, s0
	s_cbranch_execz .LBB0_9
; %bb.8:
	ds_read_b128 v[68:71], v181
	ds_read_b128 v[72:75], v181 offset:1232
	ds_read_b128 v[76:79], v181 offset:2464
	;; [unrolled: 1-line block ×7, first 2 shown]
.LBB0_9:
	s_or_b32 exec_lo, exec_lo, s1
	v_add_nc_u32_e32 v36, 0xffffffb3, v183
	s_mov_b32 s9, 0x3fe6a09e
	v_cndmask_b32_e64 v36, v36, v183, s0
	v_mul_i32_i24_e32 v37, 0x70, v36
	v_mul_hi_i32_i24_e32 v36, 0x70, v36
	v_add_co_u32 v56, s1, s2, v37
	v_add_co_ci_u32_e64 v57, s1, s3, v36, s1
	s_mov_b32 s2, 0x667f3bcd
	s_mov_b32 s3, 0xbfe6a09e
	s_mov_b32 s8, s2
	s_clause 0x6
	global_load_dwordx4 v[44:47], v[56:57], off offset:1056
	global_load_dwordx4 v[40:43], v[56:57], off offset:1072
	;; [unrolled: 1-line block ×7, first 2 shown]
	s_waitcnt vmcnt(6) lgkmcnt(6)
	v_mul_f64 v[96:97], v[74:75], v[46:47]
	v_mul_f64 v[98:99], v[72:73], v[46:47]
	s_waitcnt vmcnt(5) lgkmcnt(5)
	v_mul_f64 v[101:102], v[78:79], v[42:43]
	v_mul_f64 v[103:104], v[76:77], v[42:43]
	;; [unrolled: 3-line block ×4, first 2 shown]
	s_waitcnt vmcnt(2)
	v_mul_f64 v[113:114], v[90:91], v[62:63]
	v_mul_f64 v[115:116], v[88:89], v[62:63]
	s_waitcnt vmcnt(1)
	v_mul_f64 v[117:118], v[82:83], v[54:55]
	v_mul_f64 v[119:120], v[80:81], v[54:55]
	s_waitcnt vmcnt(0) lgkmcnt(0)
	v_mul_f64 v[121:122], v[66:67], v[58:59]
	v_mul_f64 v[123:124], v[64:65], v[58:59]
	v_fma_f64 v[72:73], v[72:73], v[44:45], -v[96:97]
	v_fma_f64 v[74:75], v[74:75], v[44:45], v[98:99]
	v_fma_f64 v[76:77], v[76:77], v[40:41], -v[101:102]
	v_fma_f64 v[78:79], v[78:79], v[40:41], v[103:104]
	;; [unrolled: 2-line block ×7, first 2 shown]
	v_add_f64 v[84:85], v[68:69], -v[84:85]
	v_add_f64 v[86:87], v[70:71], -v[86:87]
	;; [unrolled: 1-line block ×8, first 2 shown]
	v_fma_f64 v[68:69], v[68:69], 2.0, -v[84:85]
	v_fma_f64 v[70:71], v[70:71], 2.0, -v[86:87]
	;; [unrolled: 1-line block ×6, first 2 shown]
	v_add_f64 v[94:95], v[84:85], -v[94:95]
	v_add_f64 v[96:97], v[86:87], v[92:93]
	v_fma_f64 v[80:81], v[80:81], 2.0, -v[64:65]
	v_fma_f64 v[82:83], v[82:83], 2.0, -v[66:67]
	v_add_f64 v[66:67], v[88:89], -v[66:67]
	v_add_f64 v[64:65], v[90:91], v[64:65]
	v_add_f64 v[92:93], v[68:69], -v[76:77]
	v_add_f64 v[98:99], v[70:71], -v[78:79]
	v_fma_f64 v[101:102], v[84:85], 2.0, -v[94:95]
	v_fma_f64 v[86:87], v[86:87], 2.0, -v[96:97]
	v_add_f64 v[76:77], v[72:73], -v[80:81]
	v_add_f64 v[78:79], v[74:75], -v[82:83]
	v_fma_f64 v[84:85], v[88:89], 2.0, -v[66:67]
	v_fma_f64 v[88:89], v[90:91], 2.0, -v[64:65]
	v_fma_f64 v[80:81], v[66:67], s[8:9], v[94:95]
	v_fma_f64 v[109:110], v[64:65], s[8:9], v[96:97]
	v_fma_f64 v[103:104], v[68:69], 2.0, -v[92:93]
	v_fma_f64 v[105:106], v[70:71], 2.0, -v[98:99]
	;; [unrolled: 1-line block ×4, first 2 shown]
	v_fma_f64 v[90:91], v[84:85], s[2:3], v[101:102]
	v_fma_f64 v[107:108], v[88:89], s[2:3], v[86:87]
	v_add_f64 v[72:73], v[92:93], -v[78:79]
	v_add_f64 v[74:75], v[98:99], v[76:77]
	v_fma_f64 v[68:69], v[64:65], s[2:3], v[80:81]
	v_add_f64 v[80:81], v[103:104], -v[70:71]
	v_add_f64 v[82:83], v[105:106], -v[82:83]
	v_fma_f64 v[76:77], v[88:89], s[2:3], v[90:91]
	v_fma_f64 v[78:79], v[84:85], s[8:9], v[107:108]
	v_fma_f64 v[70:71], v[66:67], s[8:9], v[109:110]
	v_fma_f64 v[88:89], v[92:93], 2.0, -v[72:73]
	v_fma_f64 v[90:91], v[98:99], 2.0, -v[74:75]
	;; [unrolled: 1-line block ×8, first 2 shown]
	s_and_saveexec_b32 s1, s0
	s_cbranch_execz .LBB0_11
; %bb.10:
	ds_write_b128 v181, v[64:67]
	ds_write_b128 v181, v[92:95] offset:1232
	ds_write_b128 v181, v[88:91] offset:2464
	;; [unrolled: 1-line block ×7, first 2 shown]
.LBB0_11:
	s_or_b32 exec_lo, exec_lo, s1
	s_waitcnt lgkmcnt(0)
	s_barrier
	buffer_gl0_inv
	s_and_saveexec_b32 s8, vcc_lo
	s_cbranch_execz .LBB0_13
; %bb.12:
	s_add_u32 s2, s14, 0x2680
	s_addc_u32 s3, s15, 0
	v_add_co_u32 v129, s1, s2, v181
	v_add_co_ci_u32_e64 v130, null, s3, 0, s1
	global_load_dwordx4 v[96:99], v181, s[2:3]
	v_add_co_u32 v113, s1, 0x800, v129
	v_add_co_ci_u32_e64 v114, s1, 0, v130, s1
	v_add_co_u32 v125, s1, 0x1000, v129
	v_add_co_ci_u32_e64 v126, s1, 0, v130, s1
	v_add_co_u32 v133, s1, 0x1800, v129
	v_or_b32_e32 v117, 0x1c00, v181
	v_add_co_ci_u32_e64 v134, s1, 0, v130, s1
	s_clause 0x6
	global_load_dwordx4 v[101:104], v181, s[2:3] offset:896
	global_load_dwordx4 v[105:108], v181, s[2:3] offset:1792
	global_load_dwordx4 v[109:112], v[113:114], off offset:640
	global_load_dwordx4 v[113:116], v[113:114], off offset:1536
	global_load_dwordx4 v[117:120], v117, s[2:3]
	global_load_dwordx4 v[121:124], v[125:126], off offset:384
	global_load_dwordx4 v[125:128], v[125:126], off offset:1280
	v_add_co_u32 v137, s1, 0x2000, v129
	v_add_co_ci_u32_e64 v138, s1, 0, v130, s1
	s_clause 0x2
	global_load_dwordx4 v[129:132], v[133:134], off offset:128
	global_load_dwordx4 v[133:136], v[133:134], off offset:1920
	;; [unrolled: 1-line block ×3, first 2 shown]
	ds_read_b128 v[141:144], v181
	ds_read_b128 v[145:148], v181 offset:896
	ds_read_b128 v[149:152], v181 offset:1792
	;; [unrolled: 1-line block ×10, first 2 shown]
	s_waitcnt vmcnt(10) lgkmcnt(10)
	v_mul_f64 v[178:179], v[143:144], v[98:99]
	v_mul_f64 v[98:99], v[141:142], v[98:99]
	s_waitcnt vmcnt(9) lgkmcnt(9)
	v_mul_f64 v[193:194], v[147:148], v[103:104]
	v_mul_f64 v[103:104], v[145:146], v[103:104]
	;; [unrolled: 3-line block ×4, first 2 shown]
	s_waitcnt lgkmcnt(6)
	v_mul_f64 v[199:200], v[159:160], v[111:112]
	v_mul_f64 v[111:112], v[157:158], v[111:112]
	s_waitcnt lgkmcnt(5)
	v_mul_f64 v[201:202], v[164:165], v[115:116]
	v_mul_f64 v[203:204], v[162:163], v[115:116]
	s_waitcnt vmcnt(4) lgkmcnt(4)
	v_mul_f64 v[205:206], v[168:169], v[123:124]
	v_mul_f64 v[123:124], v[166:167], v[123:124]
	s_waitcnt vmcnt(3) lgkmcnt(3)
	;; [unrolled: 3-line block ×5, first 2 shown]
	v_mul_f64 v[213:214], v[191:192], v[139:140]
	v_mul_f64 v[215:216], v[189:190], v[139:140]
	v_fma_f64 v[139:140], v[141:142], v[96:97], -v[178:179]
	v_fma_f64 v[141:142], v[143:144], v[96:97], v[98:99]
	v_fma_f64 v[96:97], v[145:146], v[101:102], -v[193:194]
	v_fma_f64 v[98:99], v[147:148], v[101:102], v[103:104]
	;; [unrolled: 2-line block ×11, first 2 shown]
	ds_write_b128 v181, v[139:142]
	ds_write_b128 v181, v[96:99] offset:896
	ds_write_b128 v181, v[101:104] offset:1792
	;; [unrolled: 1-line block ×10, first 2 shown]
.LBB0_13:
	s_or_b32 exec_lo, exec_lo, s8
	s_waitcnt lgkmcnt(0)
	s_barrier
	buffer_gl0_inv
	s_and_saveexec_b32 s1, vcc_lo
	s_cbranch_execz .LBB0_15
; %bb.14:
	ds_read_b128 v[64:67], v181
	ds_read_b128 v[92:95], v181 offset:896
	ds_read_b128 v[88:91], v181 offset:1792
	;; [unrolled: 1-line block ×10, first 2 shown]
.LBB0_15:
	s_or_b32 exec_lo, exec_lo, s1
	s_waitcnt lgkmcnt(0)
	v_add_f64 v[121:122], v[94:95], -v[2:3]
	v_add_f64 v[103:104], v[2:3], v[94:95]
	s_mov_b32 s2, 0x7f775887
	s_mov_b32 s16, 0xbb3a28a1
	;; [unrolled: 1-line block ×4, first 2 shown]
	v_add_f64 v[101:102], v[0:1], v[92:93]
	v_add_f64 v[125:126], v[92:93], -v[0:1]
	v_add_f64 v[123:124], v[90:91], -v[6:7]
	v_add_f64 v[105:106], v[90:91], v[6:7]
	s_mov_b32 s8, 0x640f44db
	s_mov_b32 s20, 0x43842ef
	;; [unrolled: 1-line block ×4, first 2 shown]
	v_add_f64 v[107:108], v[88:89], v[4:5]
	v_add_f64 v[129:130], v[88:89], -v[4:5]
	v_add_f64 v[127:128], v[86:87], -v[10:11]
	v_add_f64 v[109:110], v[10:11], v[86:87]
	s_mov_b32 s10, 0x8764f0ba
	s_mov_b32 s24, 0xf8bb580b
	;; [unrolled: 1-line block ×4, first 2 shown]
	v_mul_f64 v[157:158], v[121:122], s[16:17]
	v_mul_f64 v[159:160], v[103:104], s[2:3]
	v_add_f64 v[113:114], v[8:9], v[84:85]
	v_add_f64 v[133:134], v[84:85], -v[8:9]
	v_add_f64 v[111:112], v[70:71], v[82:83]
	v_add_f64 v[131:132], v[82:83], -v[70:71]
	s_mov_b32 s18, 0x9bcd5057
	s_mov_b32 s22, 0xfd768dbf
	v_mul_f64 v[141:142], v[123:124], s[20:21]
	v_mul_f64 v[143:144], v[105:106], s[8:9]
	s_mov_b32 s19, 0xbfeeb42a
	s_mov_b32 s23, 0xbfd207e7
	v_add_f64 v[117:118], v[68:69], v[80:81]
	v_add_f64 v[137:138], v[80:81], -v[68:69]
	v_add_f64 v[115:116], v[78:79], v[74:75]
	v_add_f64 v[135:136], v[78:79], -v[74:75]
	v_mul_f64 v[145:146], v[127:128], s[24:25]
	v_mul_f64 v[149:150], v[109:110], s[10:11]
	s_mov_b32 s26, 0xd9c712b6
	s_mov_b32 s29, 0x3fed1bb4
	;; [unrolled: 1-line block ×4, first 2 shown]
	v_fma_f64 v[96:97], v[101:102], s[2:3], -v[157:158]
	v_fma_f64 v[98:99], v[125:126], s[16:17], v[159:160]
	s_barrier
	v_mul_f64 v[155:156], v[111:112], s[18:19]
	v_mul_f64 v[153:154], v[131:132], s[22:23]
	buffer_gl0_inv
	v_fma_f64 v[119:120], v[107:108], s[8:9], -v[141:142]
	v_fma_f64 v[139:140], v[129:130], s[20:21], v[143:144]
	v_mul_f64 v[151:152], v[115:116], s[26:27]
	v_mul_f64 v[147:148], v[135:136], s[28:29]
	v_fma_f64 v[162:163], v[113:114], s[10:11], -v[145:146]
	v_fma_f64 v[164:165], v[133:134], s[24:25], v[149:150]
	v_add_f64 v[96:97], v[64:65], v[96:97]
	v_add_f64 v[98:99], v[66:67], v[98:99]
	v_fma_f64 v[168:169], v[137:138], s[22:23], v[155:156]
	v_fma_f64 v[166:167], v[117:118], s[18:19], -v[153:154]
	v_add_f64 v[96:97], v[119:120], v[96:97]
	v_add_f64 v[98:99], v[139:140], v[98:99]
	;; [unrolled: 1-line block ×3, first 2 shown]
	v_add_f64 v[139:140], v[76:77], -v[72:73]
	v_add_f64 v[96:97], v[162:163], v[96:97]
	v_add_f64 v[98:99], v[164:165], v[98:99]
	v_fma_f64 v[162:163], v[119:120], s[26:27], -v[147:148]
	v_fma_f64 v[164:165], v[139:140], s[28:29], v[151:152]
	v_add_f64 v[96:97], v[166:167], v[96:97]
	v_add_f64 v[98:99], v[168:169], v[98:99]
	v_add_f64 v[96:97], v[162:163], v[96:97]
	v_add_f64 v[98:99], v[164:165], v[98:99]
	s_and_saveexec_b32 s1, vcc_lo
	s_cbranch_execz .LBB0_17
; %bb.16:
	v_mul_f64 v[162:163], v[125:126], s[22:23]
	s_mov_b32 s35, 0xbfefac9e
	s_mov_b32 s31, 0x3fe14ced
	s_mov_b32 s30, s24
	s_mov_b32 s34, s20
	v_mul_f64 v[166:167], v[101:102], s[2:3]
	v_mul_f64 v[168:169], v[125:126], s[16:17]
	v_mul_f64 v[191:192], v[129:130], s[30:31]
	v_mul_f64 v[195:196], v[125:126], s[34:35]
	v_mul_f64 v[203:204], v[121:122], s[34:35]
	s_mov_b32 s37, 0x3fd207e7
	s_mov_b32 s36, s22
	v_mul_f64 v[170:171], v[107:108], s[8:9]
	v_mul_f64 v[172:173], v[129:130], s[20:21]
	v_mul_f64 v[205:206], v[133:134], s[16:17]
	v_mul_f64 v[219:220], v[123:124], s[36:37]
	v_add_f64 v[94:95], v[66:67], v[94:95]
	v_add_f64 v[92:93], v[64:65], v[92:93]
	v_mul_f64 v[164:165], v[121:122], s[22:23]
	v_mul_f64 v[174:175], v[113:114], s[10:11]
	;; [unrolled: 1-line block ×4, first 2 shown]
	v_fma_f64 v[199:200], v[103:104], s[18:19], v[162:163]
	v_fma_f64 v[162:163], v[103:104], s[18:19], -v[162:163]
	v_mul_f64 v[215:216], v[133:134], s[28:29]
	v_mul_f64 v[229:230], v[127:128], s[28:29]
	;; [unrolled: 1-line block ×3, first 2 shown]
	v_add_f64 v[157:158], v[166:167], v[157:158]
	v_add_f64 v[159:160], v[159:160], -v[168:169]
	v_mul_f64 v[168:169], v[129:130], s[36:37]
	v_fma_f64 v[166:167], v[105:106], s[10:11], v[191:192]
	v_fma_f64 v[223:224], v[103:104], s[8:9], v[195:196]
	v_fma_f64 v[191:192], v[105:106], s[10:11], -v[191:192]
	v_fma_f64 v[225:226], v[101:102], s[8:9], -v[203:204]
	v_add_f64 v[141:142], v[170:171], v[141:142]
	v_add_f64 v[143:144], v[143:144], -v[172:173]
	v_fma_f64 v[233:234], v[109:110], s[2:3], v[205:206]
	v_fma_f64 v[205:206], v[109:110], s[2:3], -v[205:206]
	v_fma_f64 v[235:236], v[107:108], s[18:19], -v[219:220]
	v_add_f64 v[90:91], v[90:91], v[94:95]
	v_add_f64 v[88:89], v[88:89], v[92:93]
	v_fma_f64 v[201:202], v[101:102], s[18:19], -v[164:165]
	v_mul_f64 v[178:179], v[117:118], s[18:19]
	v_mul_f64 v[185:186], v[137:138], s[22:23]
	;; [unrolled: 1-line block ×3, first 2 shown]
	v_add_f64 v[162:163], v[66:67], v[162:163]
	v_mul_f64 v[227:228], v[131:132], s[24:25]
	v_add_f64 v[149:150], v[149:150], -v[176:177]
	v_fma_f64 v[176:177], v[103:104], s[8:9], -v[195:196]
	v_add_f64 v[157:158], v[64:65], v[157:158]
	v_add_f64 v[159:160], v[66:67], v[159:160]
	v_fma_f64 v[170:171], v[105:106], s[18:19], v[168:169]
	v_add_f64 v[145:146], v[174:175], v[145:146]
	v_add_f64 v[223:224], v[66:67], v[223:224]
	v_fma_f64 v[174:175], v[101:102], s[8:9], v[203:204]
	v_fma_f64 v[195:196], v[113:114], s[26:27], -v[229:230]
	v_fma_f64 v[164:165], v[101:102], s[18:19], v[164:165]
	v_mul_f64 v[209:210], v[127:128], s[16:17]
	v_fma_f64 v[221:222], v[107:108], s[10:11], -v[193:194]
	v_add_f64 v[199:200], v[66:67], v[199:200]
	v_mul_f64 v[189:190], v[139:140], s[28:29]
	v_add_f64 v[86:87], v[86:87], v[90:91]
	v_add_f64 v[84:85], v[84:85], v[88:89]
	;; [unrolled: 1-line block ×3, first 2 shown]
	v_mul_f64 v[207:208], v[131:132], s[28:29]
	s_mov_b32 s29, 0xbfed1bb4
	v_add_f64 v[155:156], v[155:156], -v[185:186]
	v_add_f64 v[162:163], v[191:192], v[162:163]
	v_add_f64 v[191:192], v[64:65], v[225:226]
	v_mul_f64 v[92:93], v[125:126], s[28:29]
	v_add_f64 v[88:89], v[178:179], v[153:154]
	v_add_f64 v[141:142], v[141:142], v[157:158]
	;; [unrolled: 1-line block ×3, first 2 shown]
	v_fma_f64 v[159:160], v[111:112], s[26:27], -v[197:198]
	v_fma_f64 v[157:158], v[109:110], s[26:27], v[215:216]
	v_add_f64 v[170:171], v[170:171], v[223:224]
	v_fma_f64 v[90:91], v[111:112], s[10:11], v[213:214]
	v_fma_f64 v[153:154], v[117:118], s[10:11], -v[227:228]
	v_fma_f64 v[168:169], v[105:106], s[18:19], -v[168:169]
	v_add_f64 v[176:177], v[66:67], v[176:177]
	v_fma_f64 v[178:179], v[107:108], s[18:19], v[219:220]
	v_add_f64 v[174:175], v[64:65], v[174:175]
	v_mul_f64 v[125:126], v[125:126], s[24:25]
	v_add_f64 v[82:83], v[82:83], v[86:87]
	v_add_f64 v[80:81], v[80:81], v[84:85]
	v_fma_f64 v[193:194], v[107:108], s[10:11], v[193:194]
	v_add_f64 v[164:165], v[64:65], v[164:165]
	v_fma_f64 v[172:173], v[113:114], s[2:3], -v[209:210]
	v_add_f64 v[166:167], v[166:167], v[199:200]
	v_add_f64 v[162:163], v[205:206], v[162:163]
	;; [unrolled: 1-line block ×4, first 2 shown]
	v_mul_f64 v[84:85], v[121:122], s[24:25]
	v_mul_f64 v[86:87], v[121:122], s[28:29]
	v_add_f64 v[143:144], v[149:150], v[143:144]
	v_fma_f64 v[94:95], v[111:112], s[26:27], v[197:198]
	v_add_f64 v[121:122], v[151:152], -v[189:190]
	v_add_f64 v[157:158], v[157:158], v[170:171]
	v_fma_f64 v[151:152], v[109:110], s[26:27], -v[215:216]
	v_mul_f64 v[187:188], v[119:120], s[26:27]
	v_fma_f64 v[209:210], v[113:114], s[2:3], v[209:210]
	v_add_f64 v[168:169], v[168:169], v[176:177]
	v_fma_f64 v[176:177], v[103:104], s[26:27], -v[92:93]
	v_add_f64 v[174:175], v[178:179], v[174:175]
	v_mul_f64 v[178:179], v[123:124], s[16:17]
	v_add_f64 v[78:79], v[78:79], v[82:83]
	v_add_f64 v[76:77], v[76:77], v[80:81]
	v_mul_f64 v[123:124], v[123:124], s[28:29]
	v_add_f64 v[164:165], v[193:194], v[164:165]
	v_fma_f64 v[193:194], v[117:118], s[26:27], -v[207:208]
	v_add_f64 v[166:167], v[233:234], v[166:167]
	v_add_f64 v[159:160], v[159:160], v[162:163]
	;; [unrolled: 1-line block ×4, first 2 shown]
	v_fma_f64 v[80:81], v[101:102], s[10:11], v[84:85]
	v_fma_f64 v[82:83], v[101:102], s[26:27], v[86:87]
	v_add_f64 v[143:144], v[155:156], v[143:144]
	v_fma_f64 v[155:156], v[113:114], s[26:27], v[229:230]
	v_fma_f64 v[92:93], v[103:104], s[26:27], v[92:93]
	v_add_f64 v[90:91], v[90:91], v[157:158]
	v_mul_f64 v[157:158], v[129:130], s[16:17]
	v_mul_f64 v[129:130], v[129:130], s[28:29]
	v_fma_f64 v[86:87], v[101:102], s[26:27], -v[86:87]
	v_fma_f64 v[84:85], v[101:102], s[10:11], -v[84:85]
	v_mul_f64 v[101:102], v[133:134], s[36:37]
	v_add_f64 v[176:177], v[66:67], v[176:177]
	v_mul_f64 v[133:134], v[133:134], s[34:35]
	v_add_f64 v[74:75], v[74:75], v[78:79]
	v_add_f64 v[72:73], v[72:73], v[76:77]
	v_fma_f64 v[189:190], v[107:108], s[2:3], v[178:179]
	v_add_f64 v[151:152], v[151:152], v[168:169]
	v_fma_f64 v[168:169], v[117:118], s[10:11], v[227:228]
	v_add_f64 v[94:95], v[94:95], v[166:167]
	v_mul_f64 v[217:218], v[135:136], s[16:17]
	v_add_f64 v[153:154], v[153:154], v[162:163]
	v_fma_f64 v[162:163], v[103:104], s[10:11], -v[125:126]
	v_fma_f64 v[103:104], v[103:104], s[10:11], v[125:126]
	v_add_f64 v[166:167], v[193:194], v[172:173]
	v_fma_f64 v[193:194], v[107:108], s[26:27], v[123:124]
	v_add_f64 v[125:126], v[155:156], v[174:175]
	v_mul_f64 v[155:156], v[127:128], s[36:37]
	v_mul_f64 v[127:128], v[127:128], s[34:35]
	v_fma_f64 v[174:175], v[105:106], s[2:3], -v[157:158]
	v_fma_f64 v[191:192], v[105:106], s[26:27], -v[129:130]
	v_add_f64 v[76:77], v[64:65], v[80:81]
	v_add_f64 v[78:79], v[64:65], v[82:83]
	v_fma_f64 v[80:81], v[105:106], s[2:3], v[157:158]
	v_add_f64 v[82:83], v[66:67], v[92:93]
	v_fma_f64 v[92:93], v[107:108], s[2:3], -v[178:179]
	v_add_f64 v[86:87], v[64:65], v[86:87]
	v_fma_f64 v[105:106], v[105:106], s[26:27], v[129:130]
	v_add_f64 v[64:65], v[64:65], v[84:85]
	v_mul_f64 v[84:85], v[137:138], s[20:21]
	v_mul_f64 v[137:138], v[137:138], s[16:17]
	v_add_f64 v[70:71], v[70:71], v[74:75]
	v_add_f64 v[68:69], v[68:69], v[72:73]
	v_mul_f64 v[201:202], v[135:136], s[34:35]
	v_add_f64 v[162:163], v[66:67], v[162:163]
	v_add_f64 v[66:67], v[66:67], v[103:104]
	v_fma_f64 v[103:104], v[107:108], s[26:27], -v[123:124]
	v_fma_f64 v[123:124], v[109:110], s[18:19], -v[101:102]
	v_mul_f64 v[107:108], v[131:132], s[20:21]
	v_mul_f64 v[131:132], v[131:132], s[16:17]
	v_fma_f64 v[157:158], v[113:114], s[18:19], v[155:156]
	v_add_f64 v[129:130], v[174:175], v[176:177]
	v_fma_f64 v[174:175], v[109:110], s[8:9], -v[133:134]
	v_fma_f64 v[176:177], v[113:114], s[8:9], v[127:128]
	v_add_f64 v[72:73], v[193:194], v[76:77]
	v_add_f64 v[74:75], v[189:190], v[78:79]
	v_fma_f64 v[76:77], v[109:110], s[18:19], v[101:102]
	v_add_f64 v[78:79], v[80:81], v[82:83]
	v_fma_f64 v[80:81], v[113:114], s[18:19], -v[155:156]
	v_add_f64 v[82:83], v[92:93], v[86:87]
	v_fma_f64 v[86:87], v[109:110], s[8:9], v[133:134]
	v_fma_f64 v[92:93], v[113:114], s[8:9], -v[127:128]
	v_mul_f64 v[127:128], v[135:136], s[22:23]
	v_add_f64 v[10:11], v[10:11], v[70:71]
	v_add_f64 v[8:9], v[8:9], v[68:69]
	v_mul_f64 v[101:102], v[139:140], s[30:31]
	v_add_f64 v[162:163], v[191:192], v[162:163]
	v_add_f64 v[66:67], v[105:106], v[66:67]
	;; [unrolled: 1-line block ×3, first 2 shown]
	v_mul_f64 v[103:104], v[135:136], s[30:31]
	v_fma_f64 v[105:106], v[111:112], s[8:9], -v[84:85]
	v_fma_f64 v[135:136], v[117:118], s[2:3], v[131:132]
	v_fma_f64 v[113:114], v[117:118], s[8:9], v[107:108]
	v_add_f64 v[109:110], v[123:124], v[129:130]
	v_fma_f64 v[129:130], v[111:112], s[2:3], -v[137:138]
	v_mul_f64 v[123:124], v[139:140], s[22:23]
	v_add_f64 v[68:69], v[176:177], v[72:73]
	v_add_f64 v[70:71], v[157:158], v[74:75]
	v_mul_f64 v[211:212], v[139:140], s[16:17]
	v_add_f64 v[147:148], v[187:188], v[147:148]
	v_fma_f64 v[187:188], v[111:112], s[10:11], -v[213:214]
	v_add_f64 v[141:142], v[145:146], v[141:142]
	v_mul_f64 v[231:232], v[139:140], s[34:35]
	v_fma_f64 v[197:198], v[117:118], s[26:27], v[207:208]
	v_add_f64 v[164:165], v[209:210], v[164:165]
	v_fma_f64 v[72:73], v[111:112], s[8:9], v[84:85]
	v_add_f64 v[74:75], v[76:77], v[78:79]
	v_fma_f64 v[76:77], v[117:118], s[8:9], -v[107:108]
	v_add_f64 v[133:134], v[174:175], v[162:163]
	v_add_f64 v[78:79], v[80:81], v[82:83]
	v_fma_f64 v[80:81], v[111:112], s[2:3], v[137:138]
	v_add_f64 v[66:67], v[86:87], v[66:67]
	v_fma_f64 v[82:83], v[117:118], s[2:3], -v[131:132]
	v_add_f64 v[64:65], v[92:93], v[64:65]
	v_add_f64 v[107:108], v[168:169], v[125:126]
	;; [unrolled: 1-line block ×3, first 2 shown]
	v_fma_f64 v[111:112], v[115:116], s[10:11], -v[101:102]
	v_fma_f64 v[117:118], v[115:116], s[18:19], -v[123:124]
	v_add_f64 v[68:69], v[135:136], v[68:69]
	v_add_f64 v[105:106], v[105:106], v[109:110]
	v_fma_f64 v[109:110], v[119:120], s[10:11], v[103:104]
	v_add_f64 v[113:114], v[113:114], v[70:71]
	v_fma_f64 v[84:85], v[115:116], s[2:3], -v[211:212]
	v_add_f64 v[86:87], v[187:188], v[151:152]
	v_fma_f64 v[92:93], v[119:120], s[2:3], v[217:218]
	v_add_f64 v[88:89], v[88:89], v[141:142]
	v_fma_f64 v[170:171], v[115:116], s[8:9], -v[231:232]
	v_fma_f64 v[172:173], v[119:120], s[8:9], v[201:202]
	v_add_f64 v[164:165], v[197:198], v[164:165]
	v_fma_f64 v[149:150], v[115:116], s[8:9], v[231:232]
	v_add_f64 v[125:126], v[129:130], v[133:134]
	v_add_f64 v[133:134], v[4:5], v[8:9]
	v_fma_f64 v[129:130], v[119:120], s[18:19], v[127:128]
	v_fma_f64 v[145:146], v[119:120], s[8:9], -v[201:202]
	v_fma_f64 v[141:142], v[115:116], s[2:3], v[211:212]
	v_fma_f64 v[185:186], v[119:120], s[2:3], -v[217:218]
	v_fma_f64 v[101:102], v[115:116], s[10:11], v[101:102]
	v_add_f64 v[135:136], v[72:73], v[74:75]
	v_fma_f64 v[103:104], v[119:120], s[10:11], -v[103:104]
	v_add_f64 v[137:138], v[76:77], v[78:79]
	v_fma_f64 v[115:116], v[115:116], s[18:19], v[123:124]
	v_add_f64 v[123:124], v[80:81], v[66:67]
	v_fma_f64 v[119:120], v[119:120], s[18:19], -v[127:128]
	v_add_f64 v[127:128], v[82:83], v[64:65]
	v_add_f64 v[2:3], v[2:3], v[131:132]
	;; [unrolled: 1-line block ×19, first 2 shown]
	v_mov_b32_e32 v92, 4
	v_add_f64 v[90:91], v[115:116], v[123:124]
	v_add_f64 v[88:89], v[119:120], v[127:128]
	v_lshlrev_b32_sdwa v92, v92, v184 dst_sel:DWORD dst_unused:UNUSED_PAD src0_sel:DWORD src1_sel:WORD_0
	ds_write_b128 v92, v[0:3]
	ds_write_b128 v92, v[76:79] offset:16
	ds_write_b128 v92, v[72:75] offset:32
	;; [unrolled: 1-line block ×10, first 2 shown]
.LBB0_17:
	s_or_b32 exec_lo, exec_lo, s1
	s_waitcnt lgkmcnt(0)
	s_barrier
	buffer_gl0_inv
	ds_read_b128 v[0:3], v181 offset:1408
	ds_read_b128 v[4:7], v181 offset:2816
	;; [unrolled: 1-line block ×6, first 2 shown]
	s_mov_b32 s2, 0x37e14327
	s_mov_b32 s3, 0x3fe948f6
	s_mov_b32 s8, 0x36b3c0b5
	s_mov_b32 s10, 0xe976ee23
	s_mov_b32 s9, 0x3fac98ee
	s_mov_b32 s11, 0x3fe11646
	s_mov_b32 s17, 0x3fe77f67
	s_mov_b32 s16, 0x5476071b
	s_mov_b32 s19, 0xbfd5d0dc
	s_mov_b32 s18, 0xb247c609
	s_waitcnt lgkmcnt(5)
	v_mul_f64 v[76:77], v[18:19], v[2:3]
	v_mul_f64 v[18:19], v[18:19], v[0:1]
	s_waitcnt lgkmcnt(4)
	v_mul_f64 v[78:79], v[14:15], v[6:7]
	v_mul_f64 v[14:15], v[14:15], v[4:5]
	;; [unrolled: 3-line block ×6, first 2 shown]
	v_fma_f64 v[0:1], v[16:17], v[0:1], v[76:77]
	v_fma_f64 v[2:3], v[16:17], v[2:3], -v[18:19]
	v_fma_f64 v[4:5], v[12:13], v[4:5], v[78:79]
	v_fma_f64 v[6:7], v[12:13], v[6:7], -v[14:15]
	;; [unrolled: 2-line block ×6, first 2 shown]
	v_add_f64 v[24:25], v[0:1], v[8:9]
	v_add_f64 v[26:27], v[2:3], v[10:11]
	;; [unrolled: 1-line block ×4, first 2 shown]
	v_add_f64 v[4:5], v[4:5], -v[12:13]
	v_add_f64 v[6:7], v[6:7], -v[14:15]
	v_add_f64 v[32:33], v[16:17], v[20:21]
	v_add_f64 v[34:35], v[18:19], v[22:23]
	v_add_f64 v[12:13], v[20:21], -v[16:17]
	v_add_f64 v[14:15], v[22:23], -v[18:19]
	;; [unrolled: 1-line block ×4, first 2 shown]
	ds_read_b128 v[0:3], v181
	s_waitcnt lgkmcnt(0)
	s_barrier
	buffer_gl0_inv
	v_add_f64 v[16:17], v[28:29], v[24:25]
	v_add_f64 v[18:19], v[30:31], v[26:27]
	v_add_f64 v[20:21], v[24:25], -v[32:33]
	v_add_f64 v[22:23], v[26:27], -v[34:35]
	;; [unrolled: 1-line block ×10, first 2 shown]
	v_add_f64 v[4:5], v[12:13], v[4:5]
	v_add_f64 v[6:7], v[14:15], v[6:7]
	v_add_f64 v[12:13], v[8:9], -v[12:13]
	v_add_f64 v[14:15], v[10:11], -v[14:15]
	v_add_f64 v[16:17], v[32:33], v[16:17]
	v_add_f64 v[18:19], v[34:35], v[18:19]
	v_mul_f64 v[20:21], v[20:21], s[2:3]
	v_mul_f64 v[22:23], v[22:23], s[2:3]
	s_mov_b32 s2, 0x429ad128
	v_mul_f64 v[28:29], v[64:65], s[8:9]
	v_mul_f64 v[30:31], v[66:67], s[8:9]
	;; [unrolled: 1-line block ×4, first 2 shown]
	s_mov_b32 s3, 0xbfebfeb5
	s_mov_b32 s10, 0xaaaaaaaa
	v_mul_f64 v[68:69], v[72:73], s[2:3]
	v_mul_f64 v[70:71], v[74:75], s[2:3]
	s_mov_b32 s11, 0xbff2aaaa
	v_add_f64 v[4:5], v[4:5], v[8:9]
	v_add_f64 v[6:7], v[6:7], v[10:11]
	;; [unrolled: 1-line block ×4, first 2 shown]
	v_fma_f64 v[8:9], v[64:65], s[8:9], v[20:21]
	v_fma_f64 v[10:11], v[66:67], s[8:9], v[22:23]
	v_fma_f64 v[28:29], v[24:25], s[16:17], -v[28:29]
	v_fma_f64 v[30:31], v[26:27], s[16:17], -v[30:31]
	s_mov_b32 s17, 0xbfe77f67
	v_fma_f64 v[64:65], v[12:13], s[18:19], v[32:33]
	v_fma_f64 v[66:67], v[14:15], s[18:19], v[34:35]
	s_mov_b32 s19, 0x3fd5d0dc
	v_fma_f64 v[32:33], v[72:73], s[2:3], -v[32:33]
	v_fma_f64 v[34:35], v[74:75], s[2:3], -v[34:35]
	v_fma_f64 v[12:13], v[12:13], s[18:19], -v[68:69]
	v_fma_f64 v[14:15], v[14:15], s[18:19], -v[70:71]
	v_fma_f64 v[20:21], v[24:25], s[16:17], -v[20:21]
	v_fma_f64 v[22:23], v[26:27], s[16:17], -v[22:23]
	s_mov_b32 s2, 0x37c3f68c
	s_mov_b32 s3, 0xbfdc38aa
	v_fma_f64 v[16:17], v[16:17], s[10:11], v[0:1]
	v_fma_f64 v[18:19], v[18:19], s[10:11], v[2:3]
	;; [unrolled: 1-line block ×8, first 2 shown]
	v_add_f64 v[68:69], v[8:9], v[16:17]
	v_add_f64 v[70:71], v[10:11], v[18:19]
	;; [unrolled: 1-line block ×7, first 2 shown]
	v_add_f64 v[6:7], v[70:71], -v[26:27]
	v_add_f64 v[8:9], v[66:67], v[20:21]
	v_add_f64 v[10:11], v[22:23], -v[64:65]
	v_add_f64 v[12:13], v[16:17], -v[34:35]
	v_add_f64 v[14:15], v[32:33], v[18:19]
	v_add_f64 v[16:17], v[34:35], v[16:17]
	v_add_f64 v[18:19], v[18:19], -v[32:33]
	v_add_f64 v[20:21], v[20:21], -v[66:67]
	v_add_f64 v[22:23], v[64:65], v[22:23]
	v_add_f64 v[24:25], v[68:69], -v[24:25]
	v_add_f64 v[26:27], v[26:27], v[70:71]
	ds_write_b128 v161, v[0:3]
	ds_write_b128 v161, v[4:7] offset:176
	ds_write_b128 v161, v[8:11] offset:352
	ds_write_b128 v161, v[12:15] offset:528
	ds_write_b128 v161, v[16:19] offset:704
	ds_write_b128 v161, v[20:23] offset:880
	ds_write_b128 v161, v[24:27] offset:1056
	s_waitcnt lgkmcnt(0)
	s_barrier
	buffer_gl0_inv
	s_and_saveexec_b32 s1, s0
	s_cbranch_execz .LBB0_19
; %bb.18:
	ds_read_b128 v[0:3], v181
	ds_read_b128 v[4:7], v181 offset:1232
	ds_read_b128 v[8:11], v181 offset:2464
	;; [unrolled: 1-line block ×7, first 2 shown]
.LBB0_19:
	s_or_b32 exec_lo, exec_lo, s1
	s_and_saveexec_b32 s1, s0
	s_cbranch_execz .LBB0_21
; %bb.20:
	s_waitcnt lgkmcnt(3)
	v_mul_f64 v[28:29], v[38:39], v[16:17]
	v_mul_f64 v[30:31], v[42:43], v[10:11]
	s_waitcnt lgkmcnt(1)
	v_mul_f64 v[32:33], v[50:51], v[26:27]
	v_mul_f64 v[34:35], v[46:47], v[4:5]
	;; [unrolled: 1-line block ×4, first 2 shown]
	s_waitcnt lgkmcnt(0)
	v_mul_f64 v[68:69], v[58:59], v[98:99]
	v_mul_f64 v[46:47], v[46:47], v[6:7]
	;; [unrolled: 1-line block ×8, first 2 shown]
	s_mov_b32 s2, 0x667f3bcd
	s_mov_b32 s3, 0x3fe6a09e
	;; [unrolled: 1-line block ×4, first 2 shown]
	v_fma_f64 v[18:19], v[36:37], v[18:19], -v[28:29]
	v_fma_f64 v[8:9], v[40:41], v[8:9], v[30:31]
	v_fma_f64 v[24:25], v[48:49], v[24:25], v[32:33]
	v_fma_f64 v[6:7], v[44:45], v[6:7], -v[34:35]
	v_fma_f64 v[22:23], v[60:61], v[22:23], -v[64:65]
	v_fma_f64 v[12:13], v[52:53], v[12:13], v[66:67]
	v_fma_f64 v[28:29], v[56:57], v[96:97], v[68:69]
	;; [unrolled: 1-line block ×3, first 2 shown]
	v_fma_f64 v[10:11], v[40:41], v[10:11], -v[42:43]
	v_fma_f64 v[26:27], v[48:49], v[26:27], -v[50:51]
	v_fma_f64 v[20:21], v[60:61], v[20:21], v[62:63]
	v_fma_f64 v[16:17], v[36:37], v[16:17], v[38:39]
	v_fma_f64 v[14:15], v[52:53], v[14:15], -v[54:55]
	v_fma_f64 v[30:31], v[56:57], v[98:99], -v[58:59]
	v_add_f64 v[18:19], v[2:3], -v[18:19]
	v_add_f64 v[24:25], v[8:9], -v[24:25]
	;; [unrolled: 1-line block ×8, first 2 shown]
	v_fma_f64 v[2:3], v[2:3], 2.0, -v[18:19]
	v_add_f64 v[32:33], v[18:19], -v[24:25]
	v_fma_f64 v[8:9], v[8:9], 2.0, -v[24:25]
	v_fma_f64 v[6:7], v[6:7], 2.0, -v[22:23]
	v_add_f64 v[34:35], v[22:23], -v[28:29]
	v_fma_f64 v[12:13], v[12:13], 2.0, -v[28:29]
	v_fma_f64 v[10:11], v[10:11], 2.0, -v[26:27]
	;; [unrolled: 1-line block ×4, first 2 shown]
	v_add_f64 v[26:27], v[26:27], v[16:17]
	v_fma_f64 v[14:15], v[14:15], 2.0, -v[30:31]
	v_add_f64 v[24:25], v[30:31], v[20:21]
	v_fma_f64 v[30:31], v[18:19], 2.0, -v[32:33]
	v_fma_f64 v[18:19], v[22:23], 2.0, -v[34:35]
	v_add_f64 v[28:29], v[2:3], -v[10:11]
	v_add_f64 v[10:11], v[4:5], -v[12:13]
	;; [unrolled: 1-line block ×3, first 2 shown]
	v_fma_f64 v[38:39], v[16:17], 2.0, -v[26:27]
	v_add_f64 v[12:13], v[6:7], -v[14:15]
	v_fma_f64 v[8:9], v[20:21], 2.0, -v[24:25]
	v_fma_f64 v[14:15], v[34:35], s[2:3], v[32:33]
	v_fma_f64 v[16:17], v[24:25], s[2:3], v[26:27]
	;; [unrolled: 1-line block ×3, first 2 shown]
	v_fma_f64 v[40:41], v[2:3], 2.0, -v[28:29]
	v_fma_f64 v[44:45], v[4:5], 2.0, -v[10:11]
	;; [unrolled: 1-line block ×4, first 2 shown]
	v_fma_f64 v[46:47], v[8:9], s[8:9], v[38:39]
	v_add_f64 v[6:7], v[28:29], -v[10:11]
	v_add_f64 v[4:5], v[36:37], v[12:13]
	v_fma_f64 v[2:3], v[24:25], s[8:9], v[14:15]
	v_fma_f64 v[0:1], v[34:35], s[2:3], v[16:17]
	;; [unrolled: 1-line block ×3, first 2 shown]
	v_add_f64 v[12:13], v[42:43], -v[44:45]
	v_add_f64 v[14:15], v[40:41], -v[22:23]
	v_fma_f64 v[8:9], v[18:19], s[2:3], v[46:47]
	v_fma_f64 v[22:23], v[28:29], 2.0, -v[6:7]
	v_fma_f64 v[20:21], v[36:37], 2.0, -v[4:5]
	;; [unrolled: 1-line block ×8, first 2 shown]
	ds_write_b128 v181, v[4:7] offset:7392
	ds_write_b128 v181, v[20:23] offset:2464
	ds_write_b128 v181, v[16:19] offset:3696
	ds_write_b128 v181, v[12:15] offset:4928
	ds_write_b128 v181, v[8:11] offset:6160
	ds_write_b128 v181, v[28:31]
	ds_write_b128 v181, v[24:27] offset:1232
	ds_write_b128 v181, v[0:3] offset:8624
.LBB0_21:
	s_or_b32 exec_lo, exec_lo, s1
	s_waitcnt lgkmcnt(0)
	s_barrier
	buffer_gl0_inv
	s_and_b32 exec_lo, exec_lo, vcc_lo
	s_cbranch_execz .LBB0_23
; %bb.22:
	v_add_co_u32 v32, s0, s14, v181
	v_add_co_ci_u32_e64 v33, null, s15, 0, s0
	global_load_dwordx4 v[0:3], v181, s[14:15]
	v_add_co_u32 v16, vcc_lo, 0x800, v32
	v_add_co_ci_u32_e32 v17, vcc_lo, 0, v33, vcc_lo
	v_add_co_u32 v28, vcc_lo, 0x1000, v32
	v_add_co_ci_u32_e32 v29, vcc_lo, 0, v33, vcc_lo
	v_add_co_u32 v36, vcc_lo, 0x1800, v32
	v_add_co_ci_u32_e32 v37, vcc_lo, 0, v33, vcc_lo
	v_lshlrev_b32_e32 v20, 4, v182
	v_add_co_u32 v40, vcc_lo, 0x2000, v32
	s_clause 0x6
	global_load_dwordx4 v[4:7], v181, s[14:15] offset:896
	global_load_dwordx4 v[8:11], v181, s[14:15] offset:1792
	global_load_dwordx4 v[12:15], v[16:17], off offset:640
	global_load_dwordx4 v[16:19], v[16:17], off offset:1536
	global_load_dwordx4 v[20:23], v20, s[14:15]
	global_load_dwordx4 v[24:27], v[28:29], off offset:384
	global_load_dwordx4 v[28:31], v[28:29], off offset:1280
	v_add_co_ci_u32_e32 v41, vcc_lo, 0, v33, vcc_lo
	s_clause 0x2
	global_load_dwordx4 v[32:35], v[36:37], off offset:128
	global_load_dwordx4 v[36:39], v[36:37], off offset:1920
	;; [unrolled: 1-line block ×3, first 2 shown]
	v_mad_u64_u32 v[44:45], null, s6, v100, 0
	v_mad_u64_u32 v[46:47], null, s4, v183, 0
	s_mul_i32 s0, s5, 0x380
	s_mul_hi_u32 s1, s4, 0x380
	s_mul_i32 s2, s4, 0x380
	s_add_i32 s3, s1, s0
	v_mad_u64_u32 v[98:99], null, s4, v182, 0
	v_mad_u64_u32 v[48:49], null, s7, v100, v[45:46]
	s_mov_b32 s0, 0x606a63be
	s_mov_b32 s1, 0x3f5a98ef
	v_mov_b32_e32 v56, v99
	v_mad_u64_u32 v[49:50], null, s5, v183, v[47:48]
	v_mov_b32_e32 v45, v48
	v_mad_u64_u32 v[72:73], null, s5, v182, v[56:57]
	v_lshlrev_b64 v[44:45], 4, v[44:45]
	v_mov_b32_e32 v47, v49
	v_mov_b32_e32 v99, v72
	v_lshlrev_b64 v[46:47], 4, v[46:47]
	v_add_co_u32 v130, vcc_lo, s12, v44
	v_add_co_ci_u32_e32 v131, vcc_lo, s13, v45, vcc_lo
	v_lshlrev_b64 v[98:99], 4, v[98:99]
	v_add_co_u32 v88, vcc_lo, v130, v46
	v_add_co_ci_u32_e32 v89, vcc_lo, v131, v47, vcc_lo
	ds_read_b128 v[44:47], v181
	ds_read_b128 v[48:51], v181 offset:896
	v_add_co_u32 v90, vcc_lo, v88, s2
	v_add_co_ci_u32_e32 v91, vcc_lo, s3, v89, vcc_lo
	ds_read_b128 v[52:55], v181 offset:7168
	ds_read_b128 v[56:59], v181 offset:1792
	v_add_co_u32 v92, vcc_lo, v90, s2
	v_add_co_ci_u32_e32 v93, vcc_lo, s3, v91, vcc_lo
	ds_read_b128 v[60:63], v181 offset:2688
	ds_read_b128 v[64:67], v181 offset:3584
	;; [unrolled: 1-line block ×3, first 2 shown]
	v_add_co_u32 v94, vcc_lo, v92, s2
	v_add_co_ci_u32_e32 v95, vcc_lo, s3, v93, vcc_lo
	ds_read_b128 v[72:75], v181 offset:5376
	ds_read_b128 v[76:79], v181 offset:6272
	;; [unrolled: 1-line block ×4, first 2 shown]
	v_add_co_u32 v96, vcc_lo, v94, s2
	v_add_co_ci_u32_e32 v97, vcc_lo, s3, v95, vcc_lo
	v_add_co_u32 v100, vcc_lo, v96, s2
	v_add_co_ci_u32_e32 v101, vcc_lo, s3, v97, vcc_lo
	;; [unrolled: 2-line block ×4, first 2 shown]
	v_mad_u64_u32 v[106:107], null, 0x700, s4, v[104:105]
	v_mad_u64_u32 v[107:108], null, 0x700, s5, v[107:108]
	s_waitcnt vmcnt(10) lgkmcnt(10)
	v_mul_f64 v[108:109], v[46:47], v[2:3]
	v_mul_f64 v[2:3], v[44:45], v[2:3]
	s_waitcnt vmcnt(9) lgkmcnt(9)
	v_mul_f64 v[110:111], v[50:51], v[6:7]
	v_mul_f64 v[6:7], v[48:49], v[6:7]
	;; [unrolled: 3-line block ×3, first 2 shown]
	s_waitcnt vmcnt(5)
	v_mul_f64 v[114:115], v[54:55], v[22:23]
	v_mul_f64 v[22:23], v[52:53], v[22:23]
	s_waitcnt lgkmcnt(6)
	v_mul_f64 v[116:117], v[62:63], v[14:15]
	v_mul_f64 v[14:15], v[60:61], v[14:15]
	s_waitcnt lgkmcnt(5)
	v_mul_f64 v[118:119], v[66:67], v[18:19]
	v_mul_f64 v[18:19], v[64:65], v[18:19]
	s_waitcnt vmcnt(4) lgkmcnt(4)
	v_mul_f64 v[120:121], v[70:71], v[26:27]
	v_mul_f64 v[26:27], v[68:69], v[26:27]
	s_waitcnt vmcnt(3) lgkmcnt(3)
	;; [unrolled: 3-line block ×5, first 2 shown]
	v_mul_f64 v[128:129], v[86:87], v[42:43]
	v_mul_f64 v[42:43], v[84:85], v[42:43]
	v_fma_f64 v[44:45], v[44:45], v[0:1], v[108:109]
	v_fma_f64 v[2:3], v[0:1], v[46:47], -v[2:3]
	v_fma_f64 v[46:47], v[48:49], v[4:5], v[110:111]
	v_fma_f64 v[6:7], v[4:5], v[50:51], -v[6:7]
	;; [unrolled: 2-line block ×11, first 2 shown]
	v_mul_f64 v[0:1], v[44:45], s[0:1]
	v_mul_f64 v[2:3], v[2:3], s[0:1]
	;; [unrolled: 1-line block ×22, first 2 shown]
	v_add_co_u32 v44, vcc_lo, v130, v98
	v_add_co_ci_u32_e32 v45, vcc_lo, v131, v99, vcc_lo
	v_add_co_u32 v46, vcc_lo, v106, s2
	v_add_co_ci_u32_e32 v47, vcc_lo, s3, v107, vcc_lo
	global_store_dwordx4 v[88:89], v[0:3], off
	global_store_dwordx4 v[90:91], v[4:7], off
	;; [unrolled: 1-line block ×11, first 2 shown]
.LBB0_23:
	s_endpgm
	.section	.rodata,"a",@progbits
	.p2align	6, 0x0
	.amdhsa_kernel bluestein_single_back_len616_dim1_dp_op_CI_CI
		.amdhsa_group_segment_fixed_size 9856
		.amdhsa_private_segment_fixed_size 0
		.amdhsa_kernarg_size 104
		.amdhsa_user_sgpr_count 6
		.amdhsa_user_sgpr_private_segment_buffer 1
		.amdhsa_user_sgpr_dispatch_ptr 0
		.amdhsa_user_sgpr_queue_ptr 0
		.amdhsa_user_sgpr_kernarg_segment_ptr 1
		.amdhsa_user_sgpr_dispatch_id 0
		.amdhsa_user_sgpr_flat_scratch_init 0
		.amdhsa_user_sgpr_private_segment_size 0
		.amdhsa_wavefront_size32 1
		.amdhsa_uses_dynamic_stack 0
		.amdhsa_system_sgpr_private_segment_wavefront_offset 0
		.amdhsa_system_sgpr_workgroup_id_x 1
		.amdhsa_system_sgpr_workgroup_id_y 0
		.amdhsa_system_sgpr_workgroup_id_z 0
		.amdhsa_system_sgpr_workgroup_info 0
		.amdhsa_system_vgpr_workitem_id 0
		.amdhsa_next_free_vgpr 237
		.amdhsa_next_free_sgpr 38
		.amdhsa_reserve_vcc 1
		.amdhsa_reserve_flat_scratch 0
		.amdhsa_float_round_mode_32 0
		.amdhsa_float_round_mode_16_64 0
		.amdhsa_float_denorm_mode_32 3
		.amdhsa_float_denorm_mode_16_64 3
		.amdhsa_dx10_clamp 1
		.amdhsa_ieee_mode 1
		.amdhsa_fp16_overflow 0
		.amdhsa_workgroup_processor_mode 1
		.amdhsa_memory_ordered 1
		.amdhsa_forward_progress 0
		.amdhsa_shared_vgpr_count 0
		.amdhsa_exception_fp_ieee_invalid_op 0
		.amdhsa_exception_fp_denorm_src 0
		.amdhsa_exception_fp_ieee_div_zero 0
		.amdhsa_exception_fp_ieee_overflow 0
		.amdhsa_exception_fp_ieee_underflow 0
		.amdhsa_exception_fp_ieee_inexact 0
		.amdhsa_exception_int_div_zero 0
	.end_amdhsa_kernel
	.text
.Lfunc_end0:
	.size	bluestein_single_back_len616_dim1_dp_op_CI_CI, .Lfunc_end0-bluestein_single_back_len616_dim1_dp_op_CI_CI
                                        ; -- End function
	.section	.AMDGPU.csdata,"",@progbits
; Kernel info:
; codeLenInByte = 13592
; NumSgprs: 40
; NumVgprs: 237
; ScratchSize: 0
; MemoryBound: 0
; FloatMode: 240
; IeeeMode: 1
; LDSByteSize: 9856 bytes/workgroup (compile time only)
; SGPRBlocks: 4
; VGPRBlocks: 29
; NumSGPRsForWavesPerEU: 40
; NumVGPRsForWavesPerEU: 237
; Occupancy: 4
; WaveLimiterHint : 1
; COMPUTE_PGM_RSRC2:SCRATCH_EN: 0
; COMPUTE_PGM_RSRC2:USER_SGPR: 6
; COMPUTE_PGM_RSRC2:TRAP_HANDLER: 0
; COMPUTE_PGM_RSRC2:TGID_X_EN: 1
; COMPUTE_PGM_RSRC2:TGID_Y_EN: 0
; COMPUTE_PGM_RSRC2:TGID_Z_EN: 0
; COMPUTE_PGM_RSRC2:TIDIG_COMP_CNT: 0
	.text
	.p2alignl 6, 3214868480
	.fill 48, 4, 3214868480
	.type	__hip_cuid_a20bd2ecbf7c20e3,@object ; @__hip_cuid_a20bd2ecbf7c20e3
	.section	.bss,"aw",@nobits
	.globl	__hip_cuid_a20bd2ecbf7c20e3
__hip_cuid_a20bd2ecbf7c20e3:
	.byte	0                               ; 0x0
	.size	__hip_cuid_a20bd2ecbf7c20e3, 1

	.ident	"AMD clang version 19.0.0git (https://github.com/RadeonOpenCompute/llvm-project roc-6.4.0 25133 c7fe45cf4b819c5991fe208aaa96edf142730f1d)"
	.section	".note.GNU-stack","",@progbits
	.addrsig
	.addrsig_sym __hip_cuid_a20bd2ecbf7c20e3
	.amdgpu_metadata
---
amdhsa.kernels:
  - .args:
      - .actual_access:  read_only
        .address_space:  global
        .offset:         0
        .size:           8
        .value_kind:     global_buffer
      - .actual_access:  read_only
        .address_space:  global
        .offset:         8
        .size:           8
        .value_kind:     global_buffer
      - .actual_access:  read_only
        .address_space:  global
        .offset:         16
        .size:           8
        .value_kind:     global_buffer
      - .actual_access:  read_only
        .address_space:  global
        .offset:         24
        .size:           8
        .value_kind:     global_buffer
      - .actual_access:  read_only
        .address_space:  global
        .offset:         32
        .size:           8
        .value_kind:     global_buffer
      - .offset:         40
        .size:           8
        .value_kind:     by_value
      - .address_space:  global
        .offset:         48
        .size:           8
        .value_kind:     global_buffer
      - .address_space:  global
        .offset:         56
        .size:           8
        .value_kind:     global_buffer
      - .address_space:  global
        .offset:         64
        .size:           8
        .value_kind:     global_buffer
      - .address_space:  global
        .offset:         72
        .size:           8
        .value_kind:     global_buffer
      - .offset:         80
        .size:           4
        .value_kind:     by_value
      - .address_space:  global
        .offset:         88
        .size:           8
        .value_kind:     global_buffer
      - .address_space:  global
        .offset:         96
        .size:           8
        .value_kind:     global_buffer
    .group_segment_fixed_size: 9856
    .kernarg_segment_align: 8
    .kernarg_segment_size: 104
    .language:       OpenCL C
    .language_version:
      - 2
      - 0
    .max_flat_workgroup_size: 88
    .name:           bluestein_single_back_len616_dim1_dp_op_CI_CI
    .private_segment_fixed_size: 0
    .sgpr_count:     40
    .sgpr_spill_count: 0
    .symbol:         bluestein_single_back_len616_dim1_dp_op_CI_CI.kd
    .uniform_work_group_size: 1
    .uses_dynamic_stack: false
    .vgpr_count:     237
    .vgpr_spill_count: 0
    .wavefront_size: 32
    .workgroup_processor_mode: 1
amdhsa.target:   amdgcn-amd-amdhsa--gfx1030
amdhsa.version:
  - 1
  - 2
...

	.end_amdgpu_metadata
